;; amdgpu-corpus repo=ROCm/bitsandbytes kind=harvested arch=n/a opt=n/a
	.text
	.amdgcn_target "amdgcn-amd-amdhsa--gfx90a"
	.amdhsa_code_object_version 6
	.protected	_Z18kQuantizeBlockwiseI6__halfLi1024ELi4ELi0ELi2EEvPfPT_S1_PhS1_ii ; -- Begin function _Z18kQuantizeBlockwiseI6__halfLi1024ELi4ELi0ELi2EEvPfPT_S1_PhS1_ii
	.globl	_Z18kQuantizeBlockwiseI6__halfLi1024ELi4ELi0ELi2EEvPfPT_S1_PhS1_ii
	.p2align	8
	.type	_Z18kQuantizeBlockwiseI6__halfLi1024ELi4ELi0ELi2EEvPfPT_S1_PhS1_ii,@function
_Z18kQuantizeBlockwiseI6__halfLi1024ELi4ELi0ELi2EEvPfPT_S1_PhS1_ii: ; @_Z18kQuantizeBlockwiseI6__halfLi1024ELi4ELi0ELi2EEvPfPT_S1_PhS1_ii
; %bb.0:
	s_load_dword s0, s[4:5], 0x30
	s_lshl_b32 s20, s6, 10
	s_waitcnt lgkmcnt(0)
	s_lshl_b32 s22, s0, 10
	s_cmp_ge_i32 s20, s22
	s_cbranch_scc1 .LBB111_133
; %bb.1:
	s_load_dwordx2 s[0:1], s[4:5], 0x8
	s_load_dwordx4 s[16:19], s[4:5], 0x10
	s_load_dword s6, s[4:5], 0x2c
	v_mbcnt_lo_u32_b32 v1, -1, 0
	v_mbcnt_hi_u32_b32 v1, -1, v1
	v_lshlrev_b32_e32 v2, 2, v0
	v_and_b32_e32 v4, 0xf00, v2
	v_lshlrev_b32_e32 v2, 1, v1
	s_waitcnt lgkmcnt(0)
	v_mov_b32_e32 v3, s1
	v_add_co_u32_e32 v2, vcc, s0, v2
	v_addc_co_u32_e32 v3, vcc, 0, v3, vcc
	v_lshlrev_b32_e32 v5, 1, v4
	v_and_b32_e32 v12, 0x3c0, v0
	v_add_co_u32_e32 v2, vcc, v2, v5
	v_add_u32_e32 v32, v1, v12
	v_addc_co_u32_e32 v3, vcc, 0, v3, vcc
	v_lshrrev_b32_e32 v14, 3, v32
	v_and_b32_e32 v24, 63, v1
	v_lshlrev_b32_e32 v13, 2, v32
	v_and_b32_e32 v14, 0xfe, v14
	v_cmp_ne_u32_e32 vcc, 63, v24
	v_add_lshl_u32 v13, v14, v13, 1
	v_addc_co_u32_e32 v14, vcc, 0, v1, vcc
	v_cmp_gt_u32_e32 vcc, 62, v24
	v_cndmask_b32_e64 v16, 0, 1, vcc
	v_cmp_gt_u32_e32 vcc, 60, v24
	v_cndmask_b32_e64 v18, 0, 1, vcc
	;; [unrolled: 2-line block ×4, first 2 shown]
	v_cmp_gt_u32_e32 vcc, 32, v24
	v_and_b32_e32 v31, 3, v1
	v_cndmask_b32_e64 v24, 0, 1, vcc
	v_cmp_ne_u32_e32 vcc, 3, v31
	v_addc_co_u32_e32 v29, vcc, 0, v1, vcc
	v_lshrrev_b32_e32 v26, 4, v0
	v_cmp_gt_u32_e64 s[2:3], 4, v0
	v_cmp_gt_u32_e32 vcc, 2, v31
	v_cmp_eq_u32_e64 s[4:5], 0, v0
	v_lshlrev_b32_e32 v0, 1, v0
	v_lshrrev_b32_e32 v33, 4, v32
	v_cndmask_b32_e64 v30, 0, 1, vcc
	v_and_b32_e32 v33, 0x7c, v33
	v_and_b32_e32 v0, 0x780, v0
	v_or_b32_e32 v4, v1, v4
	v_lshlrev_b32_e32 v16, 1, v16
	v_lshlrev_b32_e32 v18, 2, v18
	;; [unrolled: 1-line block ×5, first 2 shown]
	v_mov_b32_e32 v27, 0xa50
	v_lshlrev_b32_e32 v30, 1, v30
	v_lshl_add_u32 v32, v32, 1, v33
	v_or_b32_e32 v33, v1, v0
	v_add_u32_e32 v5, 64, v4
	v_or_b32_e32 v6, 0x80, v4
	v_add_u32_e32 v7, 0xc0, v4
	v_add_u32_e32 v15, 1, v1
	v_add_lshl_u32 v16, v16, v1, 2
	v_add_u32_e32 v17, 2, v1
	v_add_lshl_u32 v18, v18, v1, 2
	;; [unrolled: 2-line block ×5, first 2 shown]
	v_add_u32_e32 v25, 32, v1
	v_cmp_eq_u32_e64 s[0:1], 0, v1
	v_lshl_add_u32 v27, v1, 2, v27
	v_add_lshl_u32 v30, v30, v1, 2
	v_add_u32_e32 v35, 64, v33
	v_mov_b32_e32 v37, s19
	v_add_co_u32_e32 v1, vcc, s18, v1
	v_lshrrev_b32_e32 v8, 5, v4
	v_lshrrev_b32_e32 v9, 5, v5
	;; [unrolled: 1-line block ×5, first 2 shown]
	v_addc_co_u32_e32 v38, vcc, 0, v37, vcc
	v_and_b32_e32 v8, 0x7a, v8
	v_and_b32_e32 v9, 0x7e, v9
	;; [unrolled: 1-line block ×5, first 2 shown]
	v_lshrrev_b32_e32 v34, 5, v0
	v_and_b32_e32 v36, 0x7c, v36
	v_add_co_u32_e32 v37, vcc, v1, v0
	v_add_lshl_u32 v8, v8, v4, 1
	v_add_lshl_u32 v9, v9, v5, 1
	;; [unrolled: 1-line block ×4, first 2 shown]
	v_lshlrev_b32_e32 v14, 2, v14
	v_add_u32_e32 v26, 0xa50, v26
	v_add_u32_e32 v28, 1, v31
	v_lshlrev_b32_e32 v29, 2, v29
	v_add_u32_e32 v31, 2, v31
	v_add_u32_e32 v34, v34, v33
	;; [unrolled: 1-line block ×3, first 2 shown]
	v_addc_co_u32_e32 v38, vcc, 0, v38, vcc
	s_sub_i32 s18, s6, s20
	s_mov_b32 s19, 0xff7fffff
	v_mov_b32_e32 v39, 0
	s_mov_b32 s23, 0x3d22faff
	s_mov_b32 s24, 0xbeadea76
	;; [unrolled: 1-line block ×15, first 2 shown]
	s_branch .LBB111_3
.LBB111_2:                              ;   in Loop: Header=BB111_3 Depth=1
	s_or_b64 exec, exec, s[6:7]
	s_add_i32 s20, s20, s22
	s_sub_i32 s18, s18, s22
	s_cmp_ge_i32 s20, s22
	s_cbranch_scc1 .LBB111_133
.LBB111_3:                              ; =>This Inner Loop Header: Depth=1
	s_ashr_i32 s21, s20, 31
	s_lshl_b64 s[6:7], s[20:21], 1
	v_mov_b32_e32 v1, s7
	v_add_co_u32_e32 v0, vcc, s6, v2
	s_min_i32 s39, s18, 0x400
	v_addc_co_u32_e32 v1, vcc, v3, v1, vcc
	v_cmp_gt_u32_e32 vcc, s39, v4
	s_waitcnt lgkmcnt(0)
	v_mov_b32_e32 v40, 0
	s_barrier
	s_and_saveexec_b64 s[6:7], vcc
	s_cbranch_execz .LBB111_5
; %bb.4:                                ;   in Loop: Header=BB111_3 Depth=1
	global_load_ushort v40, v[0:1], off
.LBB111_5:                              ;   in Loop: Header=BB111_3 Depth=1
	s_or_b64 exec, exec, s[6:7]
	v_cmp_gt_u32_e32 vcc, s39, v5
	v_mov_b32_e32 v41, 0
	v_mov_b32_e32 v42, 0
	s_and_saveexec_b64 s[6:7], vcc
	s_cbranch_execz .LBB111_7
; %bb.6:                                ;   in Loop: Header=BB111_3 Depth=1
	global_load_ushort v42, v[0:1], off offset:128
.LBB111_7:                              ;   in Loop: Header=BB111_3 Depth=1
	s_or_b64 exec, exec, s[6:7]
	v_cmp_gt_u32_e32 vcc, s39, v6
	s_and_saveexec_b64 s[6:7], vcc
	s_cbranch_execz .LBB111_9
; %bb.8:                                ;   in Loop: Header=BB111_3 Depth=1
	global_load_ushort v41, v[0:1], off offset:256
.LBB111_9:                              ;   in Loop: Header=BB111_3 Depth=1
	s_or_b64 exec, exec, s[6:7]
	v_cmp_gt_u32_e32 vcc, s39, v7
	v_mov_b32_e32 v43, 0
	s_and_saveexec_b64 s[6:7], vcc
	s_cbranch_execz .LBB111_11
; %bb.10:                               ;   in Loop: Header=BB111_3 Depth=1
	global_load_ushort v43, v[0:1], off offset:384
.LBB111_11:                             ;   in Loop: Header=BB111_3 Depth=1
	s_or_b64 exec, exec, s[6:7]
	s_waitcnt vmcnt(0)
	ds_write_b16 v8, v40
	ds_write_b16 v9, v42
	;; [unrolled: 1-line block ×4, first 2 shown]
	; wave barrier
	ds_read_b64 v[0:1], v13
	s_waitcnt lgkmcnt(0)
	v_cvt_f32_f16_e64 v40, |v0|
	v_cvt_f32_f16_sdwa v41, |v0| dst_sel:DWORD dst_unused:UNUSED_PAD src0_sel:WORD_1
	v_cvt_f32_f16_e64 v42, |v1|
	v_cvt_f32_f16_sdwa v43, |v1| dst_sel:DWORD dst_unused:UNUSED_PAD src0_sel:WORD_1
	v_max3_f32 v40, v40, s19, v41
	v_max3_f32 v40, v40, v42, v43
	ds_bpermute_b32 v41, v14, v40
	v_sub_u32_e64 v42, s39, v12 clamp
	v_cmp_lt_u32_e64 s[12:13], v25, v42
	s_waitcnt lgkmcnt(0)
	v_cmp_lt_f32_e32 vcc, v40, v41
	v_cndmask_b32_e32 v41, v40, v41, vcc
	v_cmp_lt_u32_e32 vcc, v15, v42
	v_cndmask_b32_e32 v41, v40, v41, vcc
	ds_bpermute_b32 v43, v16, v41
	s_waitcnt lgkmcnt(0)
	v_cmp_lt_f32_e64 s[6:7], v41, v43
	v_cndmask_b32_e64 v43, v41, v43, s[6:7]
	v_cmp_lt_u32_e64 s[6:7], v17, v42
	v_cndmask_b32_e64 v41, v41, v43, s[6:7]
	ds_bpermute_b32 v43, v18, v41
	s_or_b64 s[6:7], vcc, s[6:7]
	s_waitcnt lgkmcnt(0)
	v_cmp_lt_f32_e64 s[8:9], v41, v43
	v_cndmask_b32_e64 v43, v41, v43, s[8:9]
	v_cmp_lt_u32_e64 s[8:9], v19, v42
	v_cndmask_b32_e64 v41, v41, v43, s[8:9]
	ds_bpermute_b32 v43, v20, v41
	s_or_b64 s[6:7], s[8:9], s[6:7]
	s_waitcnt lgkmcnt(0)
	v_cmp_lt_f32_e64 s[10:11], v41, v43
	v_cndmask_b32_e64 v43, v41, v43, s[10:11]
	v_cmp_lt_u32_e64 s[10:11], v21, v42
	v_cndmask_b32_e64 v41, v41, v43, s[10:11]
	ds_bpermute_b32 v43, v22, v41
	s_or_b64 s[6:7], s[10:11], s[6:7]
	;; [unrolled: 7-line block ×3, first 2 shown]
	s_waitcnt lgkmcnt(0)
	v_cmp_lt_f32_e32 vcc, v41, v42
	s_and_b64 vcc, s[12:13], vcc
	v_cndmask_b32_e32 v41, v41, v42, vcc
	s_or_b64 vcc, s[12:13], s[6:7]
	v_cndmask_b32_e32 v40, v40, v41, vcc
	s_and_saveexec_b64 s[6:7], s[0:1]
	s_cbranch_execz .LBB111_13
; %bb.12:                               ;   in Loop: Header=BB111_3 Depth=1
	ds_write_b32 v26, v40
.LBB111_13:                             ;   in Loop: Header=BB111_3 Depth=1
	s_or_b64 exec, exec, s[6:7]
	s_waitcnt lgkmcnt(0)
	s_barrier
	s_and_saveexec_b64 s[10:11], s[2:3]
	s_cbranch_execz .LBB111_15
; %bb.14:                               ;   in Loop: Header=BB111_3 Depth=1
	ds_read_b32 v40, v27
	s_add_i32 s6, s39, 63
	s_lshr_b32 s6, s6, 6
	s_waitcnt lgkmcnt(0)
	ds_bpermute_b32 v41, v29, v40
	s_waitcnt lgkmcnt(0)
	v_cmp_lt_f32_e32 vcc, v40, v41
	v_cndmask_b32_e32 v41, v40, v41, vcc
	v_cmp_gt_u32_e32 vcc, s6, v28
	v_cndmask_b32_e32 v42, v40, v41, vcc
	ds_bpermute_b32 v42, v30, v42
	v_cmp_gt_u32_e64 s[6:7], s6, v31
	s_waitcnt lgkmcnt(0)
	v_cmp_lt_f32_e64 s[8:9], v41, v42
	s_and_b64 s[6:7], s[6:7], s[8:9]
	v_cndmask_b32_e64 v41, v41, v42, s[6:7]
	v_cndmask_b32_e32 v40, v40, v41, vcc
.LBB111_15:                             ;   in Loop: Header=BB111_3 Depth=1
	s_or_b64 exec, exec, s[10:11]
	s_and_saveexec_b64 s[6:7], s[4:5]
	s_cbranch_execz .LBB111_17
; %bb.16:                               ;   in Loop: Header=BB111_3 Depth=1
	v_div_scale_f32 v41, s[8:9], v40, v40, 1.0
	v_rcp_f32_e32 v42, v41
	v_div_scale_f32 v43, vcc, 1.0, v40, 1.0
	s_ashr_i32 s8, s20, 10
	v_fma_f32 v44, -v41, v42, 1.0
	v_fmac_f32_e32 v42, v44, v42
	v_mul_f32_e32 v44, v43, v42
	v_fma_f32 v45, -v41, v44, v43
	v_fmac_f32_e32 v44, v45, v42
	s_ashr_i32 s9, s8, 31
	v_fma_f32 v41, -v41, v44, v43
	s_lshl_b64 s[8:9], s[8:9], 2
	v_div_fmas_f32 v41, v41, v42, v44
	s_add_u32 s8, s16, s8
	v_div_fixup_f32 v41, v41, v40, 1.0
	s_addc_u32 s9, s17, s9
	ds_write_b32 v39, v41 offset:2656
	global_store_dword v39, v40, s[8:9]
.LBB111_17:                             ;   in Loop: Header=BB111_3 Depth=1
	s_or_b64 exec, exec, s[6:7]
	s_waitcnt lgkmcnt(0)
	s_barrier
	ds_read_b32 v41, v39 offset:2656
	v_cvt_f32_f16_e32 v40, v0
	s_waitcnt lgkmcnt(0)
	v_mul_f32_e32 v42, v41, v40
	v_cmp_nlt_f32_e32 vcc, s23, v42
                                        ; implicit-def: $vgpr40
	s_and_saveexec_b64 s[6:7], vcc
	s_xor_b64 s[6:7], exec, s[6:7]
	s_cbranch_execz .LBB111_31
; %bb.18:                               ;   in Loop: Header=BB111_3 Depth=1
	v_cmp_nlt_f32_e32 vcc, s24, v42
                                        ; implicit-def: $vgpr40
	s_and_saveexec_b64 s[8:9], vcc
	s_xor_b64 s[8:9], exec, s[8:9]
	s_cbranch_execz .LBB111_24
; %bb.19:                               ;   in Loop: Header=BB111_3 Depth=1
	v_cmp_nlt_f32_e32 vcc, s25, v42
                                        ; implicit-def: $vgpr40
	s_and_saveexec_b64 s[10:11], vcc
	s_xor_b64 s[10:11], exec, s[10:11]
; %bb.20:                               ;   in Loop: Header=BB111_3 Depth=1
	v_cmp_lt_f32_e32 vcc, s26, v42
	v_cndmask_b32_e64 v40, 0, 1, vcc
                                        ; implicit-def: $vgpr42
; %bb.21:                               ;   in Loop: Header=BB111_3 Depth=1
	s_andn2_saveexec_b64 s[10:11], s[10:11]
; %bb.22:                               ;   in Loop: Header=BB111_3 Depth=1
	v_cmp_lt_f32_e32 vcc, s27, v42
	v_cndmask_b32_e64 v40, 2, 3, vcc
; %bb.23:                               ;   in Loop: Header=BB111_3 Depth=1
	s_or_b64 exec, exec, s[10:11]
                                        ; implicit-def: $vgpr42
.LBB111_24:                             ;   in Loop: Header=BB111_3 Depth=1
	s_andn2_saveexec_b64 s[8:9], s[8:9]
	s_cbranch_execz .LBB111_30
; %bb.25:                               ;   in Loop: Header=BB111_3 Depth=1
	v_cmp_nlt_f32_e32 vcc, s28, v42
                                        ; implicit-def: $vgpr40
	s_and_saveexec_b64 s[10:11], vcc
	s_xor_b64 s[10:11], exec, s[10:11]
; %bb.26:                               ;   in Loop: Header=BB111_3 Depth=1
	v_cmp_lt_f32_e32 vcc, s29, v42
	v_cndmask_b32_e64 v40, 4, 5, vcc
                                        ; implicit-def: $vgpr42
; %bb.27:                               ;   in Loop: Header=BB111_3 Depth=1
	s_andn2_saveexec_b64 s[10:11], s[10:11]
; %bb.28:                               ;   in Loop: Header=BB111_3 Depth=1
	v_cmp_lt_f32_e32 vcc, s30, v42
	v_cndmask_b32_e64 v40, 6, 7, vcc
; %bb.29:                               ;   in Loop: Header=BB111_3 Depth=1
	s_or_b64 exec, exec, s[10:11]
.LBB111_30:                             ;   in Loop: Header=BB111_3 Depth=1
	s_or_b64 exec, exec, s[8:9]
                                        ; implicit-def: $vgpr42
.LBB111_31:                             ;   in Loop: Header=BB111_3 Depth=1
	s_andn2_saveexec_b64 s[6:7], s[6:7]
	s_cbranch_execz .LBB111_45
; %bb.32:                               ;   in Loop: Header=BB111_3 Depth=1
	v_cmp_nlt_f32_e32 vcc, s31, v42
                                        ; implicit-def: $vgpr40
	s_and_saveexec_b64 s[8:9], vcc
	s_xor_b64 s[8:9], exec, s[8:9]
	s_cbranch_execz .LBB111_38
; %bb.33:                               ;   in Loop: Header=BB111_3 Depth=1
	v_cmp_nlt_f32_e32 vcc, s33, v42
                                        ; implicit-def: $vgpr40
	s_and_saveexec_b64 s[10:11], vcc
	s_xor_b64 s[10:11], exec, s[10:11]
; %bb.34:                               ;   in Loop: Header=BB111_3 Depth=1
	v_cmp_lt_f32_e32 vcc, s34, v42
	v_cndmask_b32_e64 v40, 8, 9, vcc
                                        ; implicit-def: $vgpr42
; %bb.35:                               ;   in Loop: Header=BB111_3 Depth=1
	s_andn2_saveexec_b64 s[10:11], s[10:11]
; %bb.36:                               ;   in Loop: Header=BB111_3 Depth=1
	v_cmp_lt_f32_e32 vcc, s35, v42
	v_cndmask_b32_e64 v40, 10, 11, vcc
; %bb.37:                               ;   in Loop: Header=BB111_3 Depth=1
	s_or_b64 exec, exec, s[10:11]
                                        ; implicit-def: $vgpr42
.LBB111_38:                             ;   in Loop: Header=BB111_3 Depth=1
	s_andn2_saveexec_b64 s[8:9], s[8:9]
	s_cbranch_execz .LBB111_44
; %bb.39:                               ;   in Loop: Header=BB111_3 Depth=1
	v_cmp_nlt_f32_e32 vcc, s36, v42
                                        ; implicit-def: $vgpr40
	s_and_saveexec_b64 s[10:11], vcc
	s_xor_b64 s[10:11], exec, s[10:11]
; %bb.40:                               ;   in Loop: Header=BB111_3 Depth=1
	v_cmp_lt_f32_e32 vcc, s37, v42
	v_cndmask_b32_e64 v40, 12, 13, vcc
                                        ; implicit-def: $vgpr42
; %bb.41:                               ;   in Loop: Header=BB111_3 Depth=1
	s_andn2_saveexec_b64 s[10:11], s[10:11]
; %bb.42:                               ;   in Loop: Header=BB111_3 Depth=1
	v_cmp_lt_f32_e32 vcc, s38, v42
	v_cndmask_b32_e64 v40, 14, 15, vcc
; %bb.43:                               ;   in Loop: Header=BB111_3 Depth=1
	s_or_b64 exec, exec, s[10:11]
.LBB111_44:                             ;   in Loop: Header=BB111_3 Depth=1
	s_or_b64 exec, exec, s[8:9]
.LBB111_45:                             ;   in Loop: Header=BB111_3 Depth=1
	s_or_b64 exec, exec, s[6:7]
	v_cvt_f32_f16_sdwa v0, v0 dst_sel:DWORD dst_unused:UNUSED_PAD src0_sel:WORD_1
	v_mul_f32_e32 v42, v41, v0
	v_cmp_nlt_f32_e32 vcc, s23, v42
                                        ; implicit-def: $vgpr0
	s_and_saveexec_b64 s[6:7], vcc
	s_xor_b64 s[6:7], exec, s[6:7]
	s_cbranch_execz .LBB111_59
; %bb.46:                               ;   in Loop: Header=BB111_3 Depth=1
	v_cmp_nlt_f32_e32 vcc, s24, v42
                                        ; implicit-def: $vgpr0
	s_and_saveexec_b64 s[8:9], vcc
	s_xor_b64 s[8:9], exec, s[8:9]
	s_cbranch_execz .LBB111_52
; %bb.47:                               ;   in Loop: Header=BB111_3 Depth=1
	v_cmp_nlt_f32_e32 vcc, s25, v42
                                        ; implicit-def: $vgpr0
	s_and_saveexec_b64 s[10:11], vcc
	s_xor_b64 s[10:11], exec, s[10:11]
; %bb.48:                               ;   in Loop: Header=BB111_3 Depth=1
	v_cmp_lt_f32_e32 vcc, s26, v42
	v_cndmask_b32_e64 v0, 0, 1, vcc
                                        ; implicit-def: $vgpr42
; %bb.49:                               ;   in Loop: Header=BB111_3 Depth=1
	s_andn2_saveexec_b64 s[10:11], s[10:11]
; %bb.50:                               ;   in Loop: Header=BB111_3 Depth=1
	v_cmp_lt_f32_e32 vcc, s27, v42
	v_cndmask_b32_e64 v0, 2, 3, vcc
; %bb.51:                               ;   in Loop: Header=BB111_3 Depth=1
	s_or_b64 exec, exec, s[10:11]
                                        ; implicit-def: $vgpr42
.LBB111_52:                             ;   in Loop: Header=BB111_3 Depth=1
	s_andn2_saveexec_b64 s[8:9], s[8:9]
	s_cbranch_execz .LBB111_58
; %bb.53:                               ;   in Loop: Header=BB111_3 Depth=1
	v_cmp_nlt_f32_e32 vcc, s28, v42
                                        ; implicit-def: $vgpr0
	s_and_saveexec_b64 s[10:11], vcc
	s_xor_b64 s[10:11], exec, s[10:11]
; %bb.54:                               ;   in Loop: Header=BB111_3 Depth=1
	v_cmp_lt_f32_e32 vcc, s29, v42
	v_cndmask_b32_e64 v0, 4, 5, vcc
                                        ; implicit-def: $vgpr42
; %bb.55:                               ;   in Loop: Header=BB111_3 Depth=1
	s_andn2_saveexec_b64 s[10:11], s[10:11]
; %bb.56:                               ;   in Loop: Header=BB111_3 Depth=1
	v_cmp_lt_f32_e32 vcc, s30, v42
	v_cndmask_b32_e64 v0, 6, 7, vcc
; %bb.57:                               ;   in Loop: Header=BB111_3 Depth=1
	s_or_b64 exec, exec, s[10:11]
.LBB111_58:                             ;   in Loop: Header=BB111_3 Depth=1
	s_or_b64 exec, exec, s[8:9]
                                        ; implicit-def: $vgpr42
.LBB111_59:                             ;   in Loop: Header=BB111_3 Depth=1
	s_andn2_saveexec_b64 s[6:7], s[6:7]
	s_cbranch_execz .LBB111_73
; %bb.60:                               ;   in Loop: Header=BB111_3 Depth=1
	v_cmp_nlt_f32_e32 vcc, s31, v42
                                        ; implicit-def: $vgpr0
	s_and_saveexec_b64 s[8:9], vcc
	s_xor_b64 s[8:9], exec, s[8:9]
	s_cbranch_execz .LBB111_66
; %bb.61:                               ;   in Loop: Header=BB111_3 Depth=1
	v_cmp_nlt_f32_e32 vcc, s33, v42
                                        ; implicit-def: $vgpr0
	s_and_saveexec_b64 s[10:11], vcc
	s_xor_b64 s[10:11], exec, s[10:11]
; %bb.62:                               ;   in Loop: Header=BB111_3 Depth=1
	v_cmp_lt_f32_e32 vcc, s34, v42
	v_cndmask_b32_e64 v0, 8, 9, vcc
                                        ; implicit-def: $vgpr42
; %bb.63:                               ;   in Loop: Header=BB111_3 Depth=1
	s_andn2_saveexec_b64 s[10:11], s[10:11]
; %bb.64:                               ;   in Loop: Header=BB111_3 Depth=1
	v_cmp_lt_f32_e32 vcc, s35, v42
	v_cndmask_b32_e64 v0, 10, 11, vcc
; %bb.65:                               ;   in Loop: Header=BB111_3 Depth=1
	s_or_b64 exec, exec, s[10:11]
                                        ; implicit-def: $vgpr42
.LBB111_66:                             ;   in Loop: Header=BB111_3 Depth=1
	s_andn2_saveexec_b64 s[8:9], s[8:9]
	s_cbranch_execz .LBB111_72
; %bb.67:                               ;   in Loop: Header=BB111_3 Depth=1
	v_cmp_nlt_f32_e32 vcc, s36, v42
                                        ; implicit-def: $vgpr0
	s_and_saveexec_b64 s[10:11], vcc
	s_xor_b64 s[10:11], exec, s[10:11]
; %bb.68:                               ;   in Loop: Header=BB111_3 Depth=1
	v_cmp_lt_f32_e32 vcc, s37, v42
	v_cndmask_b32_e64 v0, 12, 13, vcc
                                        ; implicit-def: $vgpr42
; %bb.69:                               ;   in Loop: Header=BB111_3 Depth=1
	s_andn2_saveexec_b64 s[10:11], s[10:11]
; %bb.70:                               ;   in Loop: Header=BB111_3 Depth=1
	v_cmp_lt_f32_e32 vcc, s38, v42
	v_cndmask_b32_e64 v0, 14, 15, vcc
; %bb.71:                               ;   in Loop: Header=BB111_3 Depth=1
	s_or_b64 exec, exec, s[10:11]
.LBB111_72:                             ;   in Loop: Header=BB111_3 Depth=1
	s_or_b64 exec, exec, s[8:9]
.LBB111_73:                             ;   in Loop: Header=BB111_3 Depth=1
	s_or_b64 exec, exec, s[6:7]
	v_cvt_f32_f16_e32 v42, v1
	v_mul_f32_e32 v43, v41, v42
	v_cmp_nlt_f32_e32 vcc, s23, v43
                                        ; implicit-def: $vgpr42
	s_and_saveexec_b64 s[6:7], vcc
	s_xor_b64 s[6:7], exec, s[6:7]
	s_cbranch_execz .LBB111_87
; %bb.74:                               ;   in Loop: Header=BB111_3 Depth=1
	v_cmp_nlt_f32_e32 vcc, s24, v43
                                        ; implicit-def: $vgpr42
	s_and_saveexec_b64 s[8:9], vcc
	s_xor_b64 s[8:9], exec, s[8:9]
	s_cbranch_execz .LBB111_80
; %bb.75:                               ;   in Loop: Header=BB111_3 Depth=1
	v_cmp_nlt_f32_e32 vcc, s25, v43
                                        ; implicit-def: $vgpr42
	s_and_saveexec_b64 s[10:11], vcc
	s_xor_b64 s[10:11], exec, s[10:11]
; %bb.76:                               ;   in Loop: Header=BB111_3 Depth=1
	v_cmp_lt_f32_e32 vcc, s26, v43
	v_cndmask_b32_e64 v42, 0, 1, vcc
                                        ; implicit-def: $vgpr43
; %bb.77:                               ;   in Loop: Header=BB111_3 Depth=1
	s_andn2_saveexec_b64 s[10:11], s[10:11]
; %bb.78:                               ;   in Loop: Header=BB111_3 Depth=1
	v_cmp_lt_f32_e32 vcc, s27, v43
	v_cndmask_b32_e64 v42, 2, 3, vcc
; %bb.79:                               ;   in Loop: Header=BB111_3 Depth=1
	s_or_b64 exec, exec, s[10:11]
                                        ; implicit-def: $vgpr43
.LBB111_80:                             ;   in Loop: Header=BB111_3 Depth=1
	s_andn2_saveexec_b64 s[8:9], s[8:9]
	s_cbranch_execz .LBB111_86
; %bb.81:                               ;   in Loop: Header=BB111_3 Depth=1
	v_cmp_nlt_f32_e32 vcc, s28, v43
                                        ; implicit-def: $vgpr42
	s_and_saveexec_b64 s[10:11], vcc
	s_xor_b64 s[10:11], exec, s[10:11]
; %bb.82:                               ;   in Loop: Header=BB111_3 Depth=1
	v_cmp_lt_f32_e32 vcc, s29, v43
	v_cndmask_b32_e64 v42, 4, 5, vcc
                                        ; implicit-def: $vgpr43
; %bb.83:                               ;   in Loop: Header=BB111_3 Depth=1
	s_andn2_saveexec_b64 s[10:11], s[10:11]
; %bb.84:                               ;   in Loop: Header=BB111_3 Depth=1
	v_cmp_lt_f32_e32 vcc, s30, v43
	v_cndmask_b32_e64 v42, 6, 7, vcc
; %bb.85:                               ;   in Loop: Header=BB111_3 Depth=1
	s_or_b64 exec, exec, s[10:11]
.LBB111_86:                             ;   in Loop: Header=BB111_3 Depth=1
	s_or_b64 exec, exec, s[8:9]
                                        ; implicit-def: $vgpr43
.LBB111_87:                             ;   in Loop: Header=BB111_3 Depth=1
	s_andn2_saveexec_b64 s[6:7], s[6:7]
	s_cbranch_execz .LBB111_101
; %bb.88:                               ;   in Loop: Header=BB111_3 Depth=1
	v_cmp_nlt_f32_e32 vcc, s31, v43
                                        ; implicit-def: $vgpr42
	s_and_saveexec_b64 s[8:9], vcc
	s_xor_b64 s[8:9], exec, s[8:9]
	s_cbranch_execz .LBB111_94
; %bb.89:                               ;   in Loop: Header=BB111_3 Depth=1
	v_cmp_nlt_f32_e32 vcc, s33, v43
                                        ; implicit-def: $vgpr42
	s_and_saveexec_b64 s[10:11], vcc
	s_xor_b64 s[10:11], exec, s[10:11]
; %bb.90:                               ;   in Loop: Header=BB111_3 Depth=1
	v_cmp_lt_f32_e32 vcc, s34, v43
	v_cndmask_b32_e64 v42, 8, 9, vcc
                                        ; implicit-def: $vgpr43
; %bb.91:                               ;   in Loop: Header=BB111_3 Depth=1
	s_andn2_saveexec_b64 s[10:11], s[10:11]
; %bb.92:                               ;   in Loop: Header=BB111_3 Depth=1
	v_cmp_lt_f32_e32 vcc, s35, v43
	v_cndmask_b32_e64 v42, 10, 11, vcc
; %bb.93:                               ;   in Loop: Header=BB111_3 Depth=1
	s_or_b64 exec, exec, s[10:11]
                                        ; implicit-def: $vgpr43
.LBB111_94:                             ;   in Loop: Header=BB111_3 Depth=1
	s_andn2_saveexec_b64 s[8:9], s[8:9]
	s_cbranch_execz .LBB111_100
; %bb.95:                               ;   in Loop: Header=BB111_3 Depth=1
	v_cmp_nlt_f32_e32 vcc, s36, v43
                                        ; implicit-def: $vgpr42
	s_and_saveexec_b64 s[10:11], vcc
	s_xor_b64 s[10:11], exec, s[10:11]
; %bb.96:                               ;   in Loop: Header=BB111_3 Depth=1
	v_cmp_lt_f32_e32 vcc, s37, v43
	v_cndmask_b32_e64 v42, 12, 13, vcc
                                        ; implicit-def: $vgpr43
; %bb.97:                               ;   in Loop: Header=BB111_3 Depth=1
	s_andn2_saveexec_b64 s[10:11], s[10:11]
; %bb.98:                               ;   in Loop: Header=BB111_3 Depth=1
	v_cmp_lt_f32_e32 vcc, s38, v43
	v_cndmask_b32_e64 v42, 14, 15, vcc
; %bb.99:                               ;   in Loop: Header=BB111_3 Depth=1
	s_or_b64 exec, exec, s[10:11]
.LBB111_100:                            ;   in Loop: Header=BB111_3 Depth=1
	s_or_b64 exec, exec, s[8:9]
.LBB111_101:                            ;   in Loop: Header=BB111_3 Depth=1
	s_or_b64 exec, exec, s[6:7]
	v_cvt_f32_f16_sdwa v1, v1 dst_sel:DWORD dst_unused:UNUSED_PAD src0_sel:WORD_1
	v_mul_f32_e32 v41, v41, v1
	v_cmp_nlt_f32_e32 vcc, s23, v41
                                        ; implicit-def: $vgpr1
	s_and_saveexec_b64 s[6:7], vcc
	s_xor_b64 s[6:7], exec, s[6:7]
	s_cbranch_execz .LBB111_115
; %bb.102:                              ;   in Loop: Header=BB111_3 Depth=1
	v_cmp_nlt_f32_e32 vcc, s24, v41
                                        ; implicit-def: $vgpr1
	s_and_saveexec_b64 s[8:9], vcc
	s_xor_b64 s[8:9], exec, s[8:9]
	s_cbranch_execz .LBB111_108
; %bb.103:                              ;   in Loop: Header=BB111_3 Depth=1
	v_cmp_nlt_f32_e32 vcc, s25, v41
                                        ; implicit-def: $vgpr1
	s_and_saveexec_b64 s[10:11], vcc
	s_xor_b64 s[10:11], exec, s[10:11]
; %bb.104:                              ;   in Loop: Header=BB111_3 Depth=1
	v_cmp_lt_f32_e32 vcc, s26, v41
	v_cndmask_b32_e64 v1, 0, 1, vcc
                                        ; implicit-def: $vgpr41
; %bb.105:                              ;   in Loop: Header=BB111_3 Depth=1
	s_andn2_saveexec_b64 s[10:11], s[10:11]
; %bb.106:                              ;   in Loop: Header=BB111_3 Depth=1
	v_cmp_lt_f32_e32 vcc, s27, v41
	v_cndmask_b32_e64 v1, 2, 3, vcc
; %bb.107:                              ;   in Loop: Header=BB111_3 Depth=1
	s_or_b64 exec, exec, s[10:11]
                                        ; implicit-def: $vgpr41
.LBB111_108:                            ;   in Loop: Header=BB111_3 Depth=1
	s_andn2_saveexec_b64 s[8:9], s[8:9]
	s_cbranch_execz .LBB111_114
; %bb.109:                              ;   in Loop: Header=BB111_3 Depth=1
	v_cmp_nlt_f32_e32 vcc, s28, v41
                                        ; implicit-def: $vgpr1
	s_and_saveexec_b64 s[10:11], vcc
	s_xor_b64 s[10:11], exec, s[10:11]
; %bb.110:                              ;   in Loop: Header=BB111_3 Depth=1
	v_cmp_lt_f32_e32 vcc, s29, v41
	v_cndmask_b32_e64 v1, 4, 5, vcc
                                        ; implicit-def: $vgpr41
; %bb.111:                              ;   in Loop: Header=BB111_3 Depth=1
	s_andn2_saveexec_b64 s[10:11], s[10:11]
; %bb.112:                              ;   in Loop: Header=BB111_3 Depth=1
	v_cmp_lt_f32_e32 vcc, s30, v41
	v_cndmask_b32_e64 v1, 6, 7, vcc
; %bb.113:                              ;   in Loop: Header=BB111_3 Depth=1
	s_or_b64 exec, exec, s[10:11]
.LBB111_114:                            ;   in Loop: Header=BB111_3 Depth=1
	s_or_b64 exec, exec, s[8:9]
                                        ; implicit-def: $vgpr41
.LBB111_115:                            ;   in Loop: Header=BB111_3 Depth=1
	s_andn2_saveexec_b64 s[6:7], s[6:7]
	s_cbranch_execz .LBB111_129
; %bb.116:                              ;   in Loop: Header=BB111_3 Depth=1
	v_cmp_nlt_f32_e32 vcc, s31, v41
                                        ; implicit-def: $vgpr1
	s_and_saveexec_b64 s[8:9], vcc
	s_xor_b64 s[8:9], exec, s[8:9]
	s_cbranch_execz .LBB111_122
; %bb.117:                              ;   in Loop: Header=BB111_3 Depth=1
	v_cmp_nlt_f32_e32 vcc, s33, v41
                                        ; implicit-def: $vgpr1
	s_and_saveexec_b64 s[10:11], vcc
	s_xor_b64 s[10:11], exec, s[10:11]
; %bb.118:                              ;   in Loop: Header=BB111_3 Depth=1
	v_cmp_lt_f32_e32 vcc, s34, v41
	v_cndmask_b32_e64 v1, 8, 9, vcc
                                        ; implicit-def: $vgpr41
; %bb.119:                              ;   in Loop: Header=BB111_3 Depth=1
	s_andn2_saveexec_b64 s[10:11], s[10:11]
; %bb.120:                              ;   in Loop: Header=BB111_3 Depth=1
	v_cmp_lt_f32_e32 vcc, s35, v41
	v_cndmask_b32_e64 v1, 10, 11, vcc
; %bb.121:                              ;   in Loop: Header=BB111_3 Depth=1
	s_or_b64 exec, exec, s[10:11]
                                        ; implicit-def: $vgpr41
.LBB111_122:                            ;   in Loop: Header=BB111_3 Depth=1
	s_andn2_saveexec_b64 s[8:9], s[8:9]
	s_cbranch_execz .LBB111_128
; %bb.123:                              ;   in Loop: Header=BB111_3 Depth=1
	v_cmp_nlt_f32_e32 vcc, s36, v41
                                        ; implicit-def: $vgpr1
	s_and_saveexec_b64 s[10:11], vcc
	s_xor_b64 s[10:11], exec, s[10:11]
; %bb.124:                              ;   in Loop: Header=BB111_3 Depth=1
	v_cmp_lt_f32_e32 vcc, s37, v41
	v_cndmask_b32_e64 v1, 12, 13, vcc
                                        ; implicit-def: $vgpr41
; %bb.125:                              ;   in Loop: Header=BB111_3 Depth=1
	s_andn2_saveexec_b64 s[10:11], s[10:11]
; %bb.126:                              ;   in Loop: Header=BB111_3 Depth=1
	v_cmp_lt_f32_e32 vcc, s38, v41
	v_cndmask_b32_e64 v1, 14, 15, vcc
; %bb.127:                              ;   in Loop: Header=BB111_3 Depth=1
	s_or_b64 exec, exec, s[10:11]
.LBB111_128:                            ;   in Loop: Header=BB111_3 Depth=1
	s_or_b64 exec, exec, s[8:9]
.LBB111_129:                            ;   in Loop: Header=BB111_3 Depth=1
	s_or_b64 exec, exec, s[6:7]
	v_lshlrev_b16_e32 v40, 4, v40
	v_lshlrev_b16_e32 v41, 4, v42
	v_or_b32_e32 v0, v0, v40
	v_or_b32_e32 v1, v1, v41
	s_barrier
	s_ashr_i32 s6, s20, 1
	s_add_i32 s8, s39, 1
	ds_write_b8 v32, v0 offset:2112
	ds_write_b8 v32, v1 offset:2113
	; wave barrier
	ds_read_u8 v40, v36 offset:2112
	s_ashr_i32 s7, s6, 31
	s_lshr_b32 s9, s8, 31
	s_add_i32 s8, s8, s9
	v_mov_b32_e32 v1, s7
	v_add_co_u32_e32 v0, vcc, s6, v37
	s_ashr_i32 s8, s8, 1
	v_addc_co_u32_e32 v1, vcc, v38, v1, vcc
	v_cmp_gt_u32_e32 vcc, s8, v33
	s_and_saveexec_b64 s[6:7], vcc
	s_xor_b64 s[6:7], exec, s[6:7]
	s_cbranch_execz .LBB111_131
; %bb.130:                              ;   in Loop: Header=BB111_3 Depth=1
	ds_read_u8 v41, v34 offset:2112
	s_waitcnt lgkmcnt(0)
	global_store_byte v[0:1], v41, off
.LBB111_131:                            ;   in Loop: Header=BB111_3 Depth=1
	s_or_b64 exec, exec, s[6:7]
	v_cmp_gt_u32_e32 vcc, s8, v35
	s_and_saveexec_b64 s[6:7], vcc
	s_cbranch_execz .LBB111_2
; %bb.132:                              ;   in Loop: Header=BB111_3 Depth=1
	s_waitcnt lgkmcnt(0)
	global_store_byte v[0:1], v40, off offset:64
	s_branch .LBB111_2
.LBB111_133:
	s_endpgm
	.section	.rodata,"a",@progbits
	.p2align	6, 0x0
	.amdhsa_kernel _Z18kQuantizeBlockwiseI6__halfLi1024ELi4ELi0ELi2EEvPfPT_S1_PhS1_ii
		.amdhsa_group_segment_fixed_size 2660
		.amdhsa_private_segment_fixed_size 0
		.amdhsa_kernarg_size 304
		.amdhsa_user_sgpr_count 6
		.amdhsa_user_sgpr_private_segment_buffer 1
		.amdhsa_user_sgpr_dispatch_ptr 0
		.amdhsa_user_sgpr_queue_ptr 0
		.amdhsa_user_sgpr_kernarg_segment_ptr 1
		.amdhsa_user_sgpr_dispatch_id 0
		.amdhsa_user_sgpr_flat_scratch_init 0
		.amdhsa_user_sgpr_kernarg_preload_length 0
		.amdhsa_user_sgpr_kernarg_preload_offset 0
		.amdhsa_user_sgpr_private_segment_size 0
		.amdhsa_uses_dynamic_stack 0
		.amdhsa_system_sgpr_private_segment_wavefront_offset 0
		.amdhsa_system_sgpr_workgroup_id_x 1
		.amdhsa_system_sgpr_workgroup_id_y 0
		.amdhsa_system_sgpr_workgroup_id_z 0
		.amdhsa_system_sgpr_workgroup_info 0
		.amdhsa_system_vgpr_workitem_id 0
		.amdhsa_next_free_vgpr 46
		.amdhsa_next_free_sgpr 40
		.amdhsa_accum_offset 48
		.amdhsa_reserve_vcc 1
		.amdhsa_reserve_flat_scratch 0
		.amdhsa_float_round_mode_32 0
		.amdhsa_float_round_mode_16_64 0
		.amdhsa_float_denorm_mode_32 3
		.amdhsa_float_denorm_mode_16_64 3
		.amdhsa_dx10_clamp 1
		.amdhsa_ieee_mode 1
		.amdhsa_fp16_overflow 0
		.amdhsa_tg_split 0
		.amdhsa_exception_fp_ieee_invalid_op 0
		.amdhsa_exception_fp_denorm_src 0
		.amdhsa_exception_fp_ieee_div_zero 0
		.amdhsa_exception_fp_ieee_overflow 0
		.amdhsa_exception_fp_ieee_underflow 0
		.amdhsa_exception_fp_ieee_inexact 0
		.amdhsa_exception_int_div_zero 0
	.end_amdhsa_kernel
	.section	.text._Z18kQuantizeBlockwiseI6__halfLi1024ELi4ELi0ELi2EEvPfPT_S1_PhS1_ii,"axG",@progbits,_Z18kQuantizeBlockwiseI6__halfLi1024ELi4ELi0ELi2EEvPfPT_S1_PhS1_ii,comdat
.Lfunc_end111:
	.size	_Z18kQuantizeBlockwiseI6__halfLi1024ELi4ELi0ELi2EEvPfPT_S1_PhS1_ii, .Lfunc_end111-_Z18kQuantizeBlockwiseI6__halfLi1024ELi4ELi0ELi2EEvPfPT_S1_PhS1_ii
                                        ; -- End function
	.section	.AMDGPU.csdata,"",@progbits
; Kernel info:
; codeLenInByte = 2776
; NumSgprs: 44
; NumVgprs: 46
; NumAgprs: 0
; TotalNumVgprs: 46
; ScratchSize: 0
; MemoryBound: 0
; FloatMode: 240
; IeeeMode: 1
; LDSByteSize: 2660 bytes/workgroup (compile time only)
; SGPRBlocks: 5
; VGPRBlocks: 5
; NumSGPRsForWavesPerEU: 44
; NumVGPRsForWavesPerEU: 46
; AccumOffset: 48
; Occupancy: 8
; WaveLimiterHint : 0
; COMPUTE_PGM_RSRC2:SCRATCH_EN: 0
; COMPUTE_PGM_RSRC2:USER_SGPR: 6
; COMPUTE_PGM_RSRC2:TRAP_HANDLER: 0
; COMPUTE_PGM_RSRC2:TGID_X_EN: 1
; COMPUTE_PGM_RSRC2:TGID_Y_EN: 0
; COMPUTE_PGM_RSRC2:TGID_Z_EN: 0
; COMPUTE_PGM_RSRC2:TIDIG_COMP_CNT: 0
; COMPUTE_PGM_RSRC3_GFX90A:ACCUM_OFFSET: 11
; COMPUTE_PGM_RSRC3_GFX90A:TG_SPLIT: 0
	.section	.text._Z18kQuantizeBlockwiseI6__halfLi512ELi2ELi0ELi2EEvPfPT_S1_PhS1_ii,"axG",@progbits,_Z18kQuantizeBlockwiseI6__halfLi512ELi2ELi0ELi2EEvPfPT_S1_PhS1_ii,comdat
